;; amdgpu-corpus repo=ROCm/rocFFT kind=compiled arch=gfx1201 opt=O3
	.text
	.amdgcn_target "amdgcn-amd-amdhsa--gfx1201"
	.amdhsa_code_object_version 6
	.protected	fft_rtc_fwd_len160_factors_4_10_4_wgs_192_tpt_16_half_ip_CI_sbcc_twdbase8_2step ; -- Begin function fft_rtc_fwd_len160_factors_4_10_4_wgs_192_tpt_16_half_ip_CI_sbcc_twdbase8_2step
	.globl	fft_rtc_fwd_len160_factors_4_10_4_wgs_192_tpt_16_half_ip_CI_sbcc_twdbase8_2step
	.p2align	8
	.type	fft_rtc_fwd_len160_factors_4_10_4_wgs_192_tpt_16_half_ip_CI_sbcc_twdbase8_2step,@function
fft_rtc_fwd_len160_factors_4_10_4_wgs_192_tpt_16_half_ip_CI_sbcc_twdbase8_2step: ; @fft_rtc_fwd_len160_factors_4_10_4_wgs_192_tpt_16_half_ip_CI_sbcc_twdbase8_2step
; %bb.0:
	s_load_b128 s[12:15], s[0:1], 0x18
	s_mov_b32 s21, 0
	s_mov_b32 s2, 0x55540000
	s_movk_i32 s3, 0x55
	s_mov_b32 s20, s21
	s_mov_b64 s[26:27], 0
	s_add_nc_u64 s[2:3], s[20:21], s[2:3]
	s_delay_alu instid0(SALU_CYCLE_1) | instskip(NEXT) | instid1(SALU_CYCLE_1)
	s_add_co_i32 s3, s3, 0x15555500
	s_mul_u64 s[4:5], s[2:3], -12
	s_delay_alu instid0(SALU_CYCLE_1)
	s_mul_hi_u32 s7, s2, s5
	s_mul_i32 s6, s2, s5
	s_mul_hi_u32 s20, s2, s4
	s_mul_i32 s9, s3, s4
	s_add_nc_u64 s[6:7], s[20:21], s[6:7]
	s_mul_hi_u32 s8, s3, s4
	s_mul_hi_u32 s10, s3, s5
	s_mul_i32 s4, s3, s5
	s_wait_kmcnt 0x0
	s_load_b64 s[18:19], s[12:13], 0x8
	s_add_co_u32 s5, s6, s9
	s_add_co_ci_u32 s20, s7, s8
	s_add_co_ci_u32 s5, s10, 0
	s_delay_alu instid0(SALU_CYCLE_1) | instskip(NEXT) | instid1(SALU_CYCLE_1)
	s_add_nc_u64 s[4:5], s[20:21], s[4:5]
	v_add_co_u32 v1, s2, s2, s4
	s_delay_alu instid0(VALU_DEP_1) | instskip(SKIP_1) | instid1(VALU_DEP_1)
	s_cmp_lg_u32 s2, 0
	s_add_co_ci_u32 s6, s3, s5
	v_readfirstlane_b32 s7, v1
	s_wait_kmcnt 0x0
	s_add_nc_u64 s[2:3], s[18:19], -1
	s_wait_alu 0xfffe
	s_mul_hi_u32 s5, s2, s6
	s_mul_i32 s4, s2, s6
	s_mul_hi_u32 s20, s2, s7
	s_mul_hi_u32 s9, s3, s7
	s_mul_i32 s7, s3, s7
	s_wait_alu 0xfffe
	s_add_nc_u64 s[4:5], s[20:21], s[4:5]
	s_mul_hi_u32 s8, s3, s6
	s_wait_alu 0xfffe
	s_add_co_u32 s4, s4, s7
	s_add_co_ci_u32 s20, s5, s9
	s_mul_i32 s6, s3, s6
	s_add_co_ci_u32 s7, s8, 0
	s_delay_alu instid0(SALU_CYCLE_1) | instskip(SKIP_3) | instid1(SALU_CYCLE_1)
	s_add_nc_u64 s[4:5], s[20:21], s[6:7]
	s_mov_b32 s20, ttmp9
	s_wait_alu 0xfffe
	s_mul_u64 s[6:7], s[4:5], 12
	v_sub_co_u32 v1, s2, s2, s6
	s_delay_alu instid0(VALU_DEP_1) | instskip(SKIP_1) | instid1(VALU_DEP_1)
	s_cmp_lg_u32 s2, 0
	s_sub_co_ci_u32 s8, s3, s7
	v_sub_co_u32 v2, s6, v1, 12
	s_delay_alu instid0(VALU_DEP_1) | instskip(SKIP_2) | instid1(VALU_DEP_2)
	s_cmp_lg_u32 s6, 0
	v_readfirstlane_b32 s10, v1
	s_sub_co_ci_u32 s6, s8, 0
	v_readfirstlane_b32 s2, v2
	s_delay_alu instid0(VALU_DEP_1)
	s_cmp_gt_u32 s2, 11
	s_add_nc_u64 s[2:3], s[4:5], 1
	s_cselect_b32 s9, -1, 0
	s_wait_alu 0xfffe
	s_cmp_eq_u32 s6, 0
	s_add_nc_u64 s[6:7], s[4:5], 2
	s_cselect_b32 s9, s9, -1
	s_delay_alu instid0(SALU_CYCLE_1)
	s_cmp_lg_u32 s9, 0
	s_wait_alu 0xfffe
	s_cselect_b32 s2, s6, s2
	s_cselect_b32 s3, s7, s3
	s_cmp_gt_u32 s10, 11
	s_cselect_b32 s6, -1, 0
	s_cmp_eq_u32 s8, 0
	s_wait_alu 0xfffe
	s_cselect_b32 s6, s6, -1
	s_wait_alu 0xfffe
	s_cmp_lg_u32 s6, 0
	s_cselect_b32 s3, s3, s5
	s_cselect_b32 s2, s2, s4
	s_wait_alu 0xfffe
	s_add_nc_u64 s[24:25], s[2:3], 1
	s_delay_alu instid0(SALU_CYCLE_1) | instskip(NEXT) | instid1(VALU_DEP_1)
	v_cmp_lt_u64_e64 s2, s[20:21], s[24:25]
	s_and_b32 vcc_lo, exec_lo, s2
	s_cbranch_vccnz .LBB0_2
; %bb.1:
	v_cvt_f32_u32_e32 v1, s24
	s_sub_co_i32 s3, 0, s24
	s_mov_b32 s27, s21
	s_delay_alu instid0(VALU_DEP_1) | instskip(NEXT) | instid1(TRANS32_DEP_1)
	v_rcp_iflag_f32_e32 v1, v1
	v_mul_f32_e32 v1, 0x4f7ffffe, v1
	s_delay_alu instid0(VALU_DEP_1) | instskip(NEXT) | instid1(VALU_DEP_1)
	v_cvt_u32_f32_e32 v1, v1
	v_readfirstlane_b32 s2, v1
	s_wait_alu 0xfffe
	s_delay_alu instid0(VALU_DEP_1)
	s_mul_i32 s3, s3, s2
	s_wait_alu 0xfffe
	s_mul_hi_u32 s3, s2, s3
	s_wait_alu 0xfffe
	s_add_co_i32 s2, s2, s3
	s_wait_alu 0xfffe
	s_mul_hi_u32 s2, s20, s2
	s_wait_alu 0xfffe
	s_mul_i32 s3, s2, s24
	s_add_co_i32 s4, s2, 1
	s_wait_alu 0xfffe
	s_sub_co_i32 s3, s20, s3
	s_wait_alu 0xfffe
	s_sub_co_i32 s5, s3, s24
	s_cmp_ge_u32 s3, s24
	s_cselect_b32 s2, s4, s2
	s_wait_alu 0xfffe
	s_cselect_b32 s3, s5, s3
	s_add_co_i32 s4, s2, 1
	s_wait_alu 0xfffe
	s_cmp_ge_u32 s3, s24
	s_cselect_b32 s26, s4, s2
.LBB0_2:
	s_load_b128 s[8:11], s[0:1], 0x8
	s_load_b128 s[4:7], s[14:15], 0x0
	s_load_b64 s[2:3], s[0:1], 0x0
	s_mul_u64 s[16:17], s[26:27], s[24:25]
	s_delay_alu instid0(SALU_CYCLE_1) | instskip(NEXT) | instid1(SALU_CYCLE_1)
	s_sub_nc_u64 s[16:17], s[20:21], s[16:17]
	s_mul_u64 s[16:17], s[16:17], 12
	s_wait_kmcnt 0x0
	v_cmp_lt_u64_e64 s22, s[10:11], 3
	s_delay_alu instid0(VALU_DEP_1)
	s_and_b32 vcc_lo, exec_lo, s22
	s_mul_u64 s[22:23], s[6:7], s[16:17]
	s_cbranch_vccnz .LBB0_12
; %bb.3:
	s_add_nc_u64 s[28:29], s[14:15], 16
	s_add_nc_u64 s[12:13], s[12:13], 16
	s_mov_b64 s[30:31], 2
	s_mov_b32 s34, 0
.LBB0_4:                                ; =>This Inner Loop Header: Depth=1
	s_load_b64 s[36:37], s[12:13], 0x0
                                        ; implicit-def: $sgpr40_sgpr41
	s_wait_kmcnt 0x0
	s_or_b64 s[38:39], s[26:27], s[36:37]
	s_delay_alu instid0(SALU_CYCLE_1)
	s_mov_b32 s35, s39
	s_mov_b32 s39, -1
	s_cmp_lg_u64 s[34:35], 0
	s_cbranch_scc0 .LBB0_6
; %bb.5:                                ;   in Loop: Header=BB0_4 Depth=1
	s_cvt_f32_u32 s33, s36
	s_cvt_f32_u32 s35, s37
	s_sub_nc_u64 s[42:43], 0, s[36:37]
	s_mov_b32 s39, 0
	s_mov_b32 s47, s34
	s_wait_alu 0xfffe
	s_fmamk_f32 s33, s35, 0x4f800000, s33
	s_wait_alu 0xfffe
	s_delay_alu instid0(SALU_CYCLE_2) | instskip(NEXT) | instid1(TRANS32_DEP_1)
	v_s_rcp_f32 s33, s33
	s_mul_f32 s33, s33, 0x5f7ffffc
	s_wait_alu 0xfffe
	s_delay_alu instid0(SALU_CYCLE_2) | instskip(NEXT) | instid1(SALU_CYCLE_3)
	s_mul_f32 s35, s33, 0x2f800000
	s_trunc_f32 s35, s35
	s_delay_alu instid0(SALU_CYCLE_3) | instskip(SKIP_2) | instid1(SALU_CYCLE_1)
	s_fmamk_f32 s33, s35, 0xcf800000, s33
	s_cvt_u32_f32 s41, s35
	s_wait_alu 0xfffe
	s_cvt_u32_f32 s40, s33
	s_wait_alu 0xfffe
	s_delay_alu instid0(SALU_CYCLE_2)
	s_mul_u64 s[44:45], s[42:43], s[40:41]
	s_wait_alu 0xfffe
	s_mul_hi_u32 s49, s40, s45
	s_mul_i32 s48, s40, s45
	s_mul_hi_u32 s38, s40, s44
	s_mul_i32 s35, s41, s44
	s_add_nc_u64 s[48:49], s[38:39], s[48:49]
	s_mul_hi_u32 s33, s41, s44
	s_mul_hi_u32 s50, s41, s45
	s_add_co_u32 s35, s48, s35
	s_wait_alu 0xfffe
	s_add_co_ci_u32 s46, s49, s33
	s_mul_i32 s44, s41, s45
	s_add_co_ci_u32 s45, s50, 0
	s_wait_alu 0xfffe
	s_add_nc_u64 s[44:45], s[46:47], s[44:45]
	s_wait_alu 0xfffe
	v_add_co_u32 v1, s33, s40, s44
	s_delay_alu instid0(VALU_DEP_1) | instskip(SKIP_1) | instid1(VALU_DEP_1)
	s_cmp_lg_u32 s33, 0
	s_add_co_ci_u32 s41, s41, s45
	v_readfirstlane_b32 s40, v1
	s_mov_b32 s45, s34
	s_wait_alu 0xfffe
	s_delay_alu instid0(VALU_DEP_1)
	s_mul_u64 s[42:43], s[42:43], s[40:41]
	s_wait_alu 0xfffe
	s_mul_hi_u32 s47, s40, s43
	s_mul_i32 s46, s40, s43
	s_mul_hi_u32 s38, s40, s42
	s_mul_i32 s35, s41, s42
	s_add_nc_u64 s[46:47], s[38:39], s[46:47]
	s_mul_hi_u32 s33, s41, s42
	s_mul_hi_u32 s40, s41, s43
	s_add_co_u32 s35, s46, s35
	s_wait_alu 0xfffe
	s_add_co_ci_u32 s44, s47, s33
	s_mul_i32 s42, s41, s43
	s_add_co_ci_u32 s43, s40, 0
	s_wait_alu 0xfffe
	s_add_nc_u64 s[42:43], s[44:45], s[42:43]
	s_wait_alu 0xfffe
	v_add_co_u32 v1, s33, v1, s42
	s_delay_alu instid0(VALU_DEP_1) | instskip(SKIP_1) | instid1(VALU_DEP_1)
	s_cmp_lg_u32 s33, 0
	s_add_co_ci_u32 s33, s41, s43
	v_readfirstlane_b32 s35, v1
	s_wait_alu 0xfffe
	s_mul_hi_u32 s41, s26, s33
	s_mul_i32 s40, s26, s33
	s_mul_hi_u32 s43, s27, s33
	s_mul_i32 s42, s27, s33
	;; [unrolled: 2-line block ×3, first 2 shown]
	s_wait_alu 0xfffe
	s_add_nc_u64 s[40:41], s[38:39], s[40:41]
	s_mul_hi_u32 s35, s27, s35
	s_wait_alu 0xfffe
	s_add_co_u32 s33, s40, s33
	s_add_co_ci_u32 s44, s41, s35
	s_add_co_ci_u32 s43, s43, 0
	s_wait_alu 0xfffe
	s_add_nc_u64 s[40:41], s[44:45], s[42:43]
	s_wait_alu 0xfffe
	s_mul_u64 s[42:43], s[36:37], s[40:41]
	s_add_nc_u64 s[44:45], s[40:41], 1
	s_wait_alu 0xfffe
	v_sub_co_u32 v1, s33, s26, s42
	s_sub_co_i32 s35, s27, s43
	s_cmp_lg_u32 s33, 0
	s_add_nc_u64 s[46:47], s[40:41], 2
	s_delay_alu instid0(VALU_DEP_1) | instskip(SKIP_2) | instid1(VALU_DEP_1)
	v_sub_co_u32 v2, s38, v1, s36
	s_sub_co_ci_u32 s35, s35, s37
	s_cmp_lg_u32 s38, 0
	v_readfirstlane_b32 s38, v2
	s_sub_co_ci_u32 s35, s35, 0
	s_delay_alu instid0(SALU_CYCLE_1) | instskip(SKIP_1) | instid1(VALU_DEP_1)
	s_cmp_ge_u32 s35, s37
	s_cselect_b32 s42, -1, 0
	s_cmp_ge_u32 s38, s36
	s_cselect_b32 s38, -1, 0
	s_cmp_eq_u32 s35, s37
	s_wait_alu 0xfffe
	s_cselect_b32 s35, s38, s42
	s_delay_alu instid0(SALU_CYCLE_1)
	s_cmp_lg_u32 s35, 0
	s_cselect_b32 s35, s46, s44
	s_cselect_b32 s38, s47, s45
	s_cmp_lg_u32 s33, 0
	v_readfirstlane_b32 s33, v1
	s_sub_co_ci_u32 s42, s27, s43
	s_wait_alu 0xfffe
	s_cmp_ge_u32 s42, s37
	s_cselect_b32 s43, -1, 0
	s_cmp_ge_u32 s33, s36
	s_cselect_b32 s33, -1, 0
	s_cmp_eq_u32 s42, s37
	s_wait_alu 0xfffe
	s_cselect_b32 s33, s33, s43
	s_wait_alu 0xfffe
	s_cmp_lg_u32 s33, 0
	s_cselect_b32 s41, s38, s41
	s_cselect_b32 s40, s35, s40
.LBB0_6:                                ;   in Loop: Header=BB0_4 Depth=1
	s_and_not1_b32 vcc_lo, exec_lo, s39
	s_cbranch_vccnz .LBB0_8
; %bb.7:                                ;   in Loop: Header=BB0_4 Depth=1
	v_cvt_f32_u32_e32 v1, s36
	s_sub_co_i32 s35, 0, s36
	s_mov_b32 s41, s34
	s_delay_alu instid0(VALU_DEP_1) | instskip(NEXT) | instid1(TRANS32_DEP_1)
	v_rcp_iflag_f32_e32 v1, v1
	v_mul_f32_e32 v1, 0x4f7ffffe, v1
	s_delay_alu instid0(VALU_DEP_1) | instskip(NEXT) | instid1(VALU_DEP_1)
	v_cvt_u32_f32_e32 v1, v1
	v_readfirstlane_b32 s33, v1
	s_delay_alu instid0(VALU_DEP_1) | instskip(NEXT) | instid1(SALU_CYCLE_1)
	s_mul_i32 s35, s35, s33
	s_mul_hi_u32 s35, s33, s35
	s_delay_alu instid0(SALU_CYCLE_1)
	s_add_co_i32 s33, s33, s35
	s_wait_alu 0xfffe
	s_mul_hi_u32 s33, s26, s33
	s_wait_alu 0xfffe
	s_mul_i32 s35, s33, s36
	s_add_co_i32 s38, s33, 1
	s_sub_co_i32 s35, s26, s35
	s_delay_alu instid0(SALU_CYCLE_1)
	s_sub_co_i32 s39, s35, s36
	s_cmp_ge_u32 s35, s36
	s_cselect_b32 s33, s38, s33
	s_cselect_b32 s35, s39, s35
	s_wait_alu 0xfffe
	s_add_co_i32 s38, s33, 1
	s_cmp_ge_u32 s35, s36
	s_cselect_b32 s40, s38, s33
.LBB0_8:                                ;   in Loop: Header=BB0_4 Depth=1
	s_load_b64 s[38:39], s[28:29], 0x0
	s_add_nc_u64 s[30:31], s[30:31], 1
	s_mul_u64 s[24:25], s[36:37], s[24:25]
	s_wait_alu 0xfffe
	v_cmp_ge_u64_e64 s33, s[30:31], s[10:11]
	s_mul_u64 s[36:37], s[40:41], s[36:37]
	s_add_nc_u64 s[28:29], s[28:29], 8
	s_wait_alu 0xfffe
	s_sub_nc_u64 s[26:27], s[26:27], s[36:37]
	s_add_nc_u64 s[12:13], s[12:13], 8
	s_and_b32 vcc_lo, exec_lo, s33
	s_wait_kmcnt 0x0
	s_wait_alu 0xfffe
	s_mul_u64 s[26:27], s[38:39], s[26:27]
	s_wait_alu 0xfffe
	s_add_nc_u64 s[22:23], s[26:27], s[22:23]
	s_cbranch_vccnz .LBB0_10
; %bb.9:                                ;   in Loop: Header=BB0_4 Depth=1
	s_mov_b64 s[26:27], s[40:41]
	s_branch .LBB0_4
.LBB0_10:
	v_cmp_lt_u64_e64 s12, s[20:21], s[24:25]
	s_mov_b64 s[26:27], 0
	s_delay_alu instid0(VALU_DEP_1)
	s_and_b32 vcc_lo, exec_lo, s12
	s_cbranch_vccnz .LBB0_12
; %bb.11:
	v_cvt_f32_u32_e32 v1, s24
	s_sub_co_i32 s13, 0, s24
	s_mov_b32 s27, 0
	s_delay_alu instid0(VALU_DEP_1) | instskip(NEXT) | instid1(TRANS32_DEP_1)
	v_rcp_iflag_f32_e32 v1, v1
	v_mul_f32_e32 v1, 0x4f7ffffe, v1
	s_delay_alu instid0(VALU_DEP_1) | instskip(NEXT) | instid1(VALU_DEP_1)
	v_cvt_u32_f32_e32 v1, v1
	v_readfirstlane_b32 s12, v1
	s_delay_alu instid0(VALU_DEP_1) | instskip(NEXT) | instid1(SALU_CYCLE_1)
	s_mul_i32 s13, s13, s12
	s_mul_hi_u32 s13, s12, s13
	s_delay_alu instid0(SALU_CYCLE_1) | instskip(NEXT) | instid1(SALU_CYCLE_1)
	s_add_co_i32 s12, s12, s13
	s_mul_hi_u32 s12, s20, s12
	s_delay_alu instid0(SALU_CYCLE_1) | instskip(NEXT) | instid1(SALU_CYCLE_1)
	s_mul_i32 s13, s12, s24
	s_sub_co_i32 s13, s20, s13
	s_add_co_i32 s20, s12, 1
	s_sub_co_i32 s21, s13, s24
	s_cmp_ge_u32 s13, s24
	s_wait_alu 0xfffe
	s_cselect_b32 s12, s20, s12
	s_cselect_b32 s13, s21, s13
	s_add_co_i32 s20, s12, 1
	s_cmp_ge_u32 s13, s24
	s_wait_alu 0xfffe
	s_cselect_b32 s26, s20, s12
.LBB0_12:
	v_mul_u32_u24_e32 v1, 0x1556, v0
	s_load_b64 s[12:13], s[0:1], 0x58
	s_lshl_b64 s[0:1], s[10:11], 3
	s_add_nc_u64 s[10:11], s[16:17], 12
	s_add_nc_u64 s[0:1], s[14:15], s[0:1]
	v_lshrrev_b32_e32 v17, 16, v1
	s_load_b64 s[0:1], s[0:1], 0x0
	v_cmp_le_u64_e64 s14, s[10:11], s[18:19]
	s_delay_alu instid0(VALU_DEP_2)
	v_mul_lo_u16 v1, v17, 12
	v_lshlrev_b32_e32 v19, 2, v17
	v_add_nc_u32_e32 v16, 16, v17
	v_or_b32_e32 v15, 32, v17
	v_add_nc_u32_e32 v14, 48, v17
	v_sub_nc_u16 v1, v0, v1
	v_or_b32_e32 v13, 64, v17
	v_add_nc_u32_e32 v12, 0x50, v17
	v_or_b32_e32 v11, 0x60, v17
	v_add_nc_u32_e32 v9, 0x70, v17
	v_and_b32_e32 v18, 0xffff, v1
	v_or_b32_e32 v10, 0x80, v17
	v_add_nc_u32_e32 v8, 0x90, v17
	s_delay_alu instid0(VALU_DEP_3)
	v_add_co_u32 v1, s10, s16, v18
	s_wait_alu 0xf1ff
	v_add_co_ci_u32_e64 v2, null, s17, 0, s10
	v_mul_u32_u24_e32 v20, 0x280, v18
	s_wait_kmcnt 0x0
	s_mul_u64 s[0:1], s[0:1], s[26:27]
	s_delay_alu instid0(SALU_CYCLE_1) | instskip(SKIP_3) | instid1(SALU_CYCLE_1)
	s_add_nc_u64 s[10:11], s[0:1], s[22:23]
	v_cmp_gt_u64_e32 vcc_lo, s[18:19], v[1:2]
	s_mov_b32 s0, 0
	s_or_b32 s14, s14, vcc_lo
	s_and_saveexec_b32 s1, s14
	s_cbranch_execz .LBB0_14
; %bb.13:
	v_mad_co_u64_u32 v[1:2], null, s6, v18, 0
	v_mad_co_u64_u32 v[3:4], null, s4, v17, 0
	;; [unrolled: 1-line block ×3, first 2 shown]
	s_wait_alu 0xfffe
	s_lshl_b64 s[18:19], s[10:11], 2
	s_wait_alu 0xfffe
	s_add_nc_u64 s[18:19], s[12:13], s[18:19]
	s_delay_alu instid0(VALU_DEP_2) | instskip(SKIP_1) | instid1(VALU_DEP_3)
	v_mad_co_u64_u32 v[21:22], null, s7, v18, v[2:3]
	v_mad_co_u64_u32 v[22:23], null, s4, v15, 0
	v_mov_b32_e32 v2, v6
	v_mad_co_u64_u32 v[6:7], null, s5, v17, v[4:5]
	s_delay_alu instid0(VALU_DEP_3) | instskip(NEXT) | instid1(VALU_DEP_3)
	v_mov_b32_e32 v7, v23
	v_mad_co_u64_u32 v[24:25], null, s5, v16, v[2:3]
	v_mad_co_u64_u32 v[25:26], null, s4, v14, 0
	v_mov_b32_e32 v2, v21
	s_delay_alu instid0(VALU_DEP_4) | instskip(SKIP_2) | instid1(VALU_DEP_4)
	v_mad_co_u64_u32 v[27:28], null, s5, v15, v[7:8]
	v_mov_b32_e32 v4, v6
	v_mov_b32_e32 v6, v24
	v_lshlrev_b64_e32 v[1:2], 2, v[1:2]
	s_delay_alu instid0(VALU_DEP_4) | instskip(NEXT) | instid1(VALU_DEP_4)
	v_mov_b32_e32 v23, v27
	v_lshlrev_b64_e32 v[3:4], 2, v[3:4]
	s_wait_alu 0xfffe
	s_delay_alu instid0(VALU_DEP_3) | instskip(NEXT) | instid1(VALU_DEP_4)
	v_add_co_u32 v38, vcc_lo, s18, v1
	v_add_co_ci_u32_e32 v39, vcc_lo, s19, v2, vcc_lo
	v_lshlrev_b64_e32 v[1:2], 2, v[5:6]
	v_mad_co_u64_u32 v[6:7], null, s4, v13, 0
	v_mov_b32_e32 v5, v26
	v_lshlrev_b64_e32 v[21:22], 2, v[22:23]
	v_mad_co_u64_u32 v[23:24], null, s4, v12, 0
	v_add_co_u32 v3, vcc_lo, v38, v3
	s_delay_alu instid0(VALU_DEP_4) | instskip(SKIP_4) | instid1(VALU_DEP_3)
	v_mad_co_u64_u32 v[26:27], null, s5, v14, v[5:6]
	v_mov_b32_e32 v5, v7
	s_wait_alu 0xfffd
	v_add_co_ci_u32_e32 v4, vcc_lo, v39, v4, vcc_lo
	v_add_co_u32 v1, vcc_lo, v38, v1
	v_mad_co_u64_u32 v[27:28], null, s5, v13, v[5:6]
	v_mov_b32_e32 v5, v24
	v_lshlrev_b64_e32 v[25:26], 2, v[25:26]
	s_wait_alu 0xfffd
	v_add_co_ci_u32_e32 v2, vcc_lo, v39, v2, vcc_lo
	v_add_co_u32 v21, vcc_lo, v38, v21
	v_mad_co_u64_u32 v[29:30], null, s5, v12, v[5:6]
	v_mad_co_u64_u32 v[30:31], null, s4, v9, 0
	v_mov_b32_e32 v7, v27
	v_mad_co_u64_u32 v[27:28], null, s4, v11, 0
	s_wait_alu 0xfffd
	v_add_co_ci_u32_e32 v22, vcc_lo, v39, v22, vcc_lo
	v_add_co_u32 v25, vcc_lo, v38, v25
	s_wait_alu 0xfffd
	v_add_co_ci_u32_e32 v26, vcc_lo, v39, v26, vcc_lo
	s_delay_alu instid0(VALU_DEP_4) | instskip(SKIP_2) | instid1(VALU_DEP_3)
	v_dual_mov_b32 v5, v28 :: v_dual_mov_b32 v28, v31
	v_lshlrev_b64_e32 v[6:7], 2, v[6:7]
	v_mov_b32_e32 v24, v29
	v_mad_co_u64_u32 v[34:35], null, s5, v9, v[28:29]
	s_delay_alu instid0(VALU_DEP_3) | instskip(SKIP_3) | instid1(VALU_DEP_4)
	v_mad_co_u64_u32 v[31:32], null, s5, v11, v[5:6]
	v_mad_co_u64_u32 v[32:33], null, s4, v10, 0
	v_mad_co_u64_u32 v[35:36], null, s4, v8, 0
	v_add_co_u32 v5, vcc_lo, v38, v6
	v_mov_b32_e32 v28, v31
	s_wait_alu 0xfffd
	v_add_co_ci_u32_e32 v6, vcc_lo, v39, v7, vcc_lo
	v_mov_b32_e32 v7, v33
	v_mov_b32_e32 v31, v34
	v_lshlrev_b64_e32 v[23:24], 2, v[23:24]
	v_lshlrev_b64_e32 v[27:28], 2, v[27:28]
	s_delay_alu instid0(VALU_DEP_4) | instskip(SKIP_1) | instid1(VALU_DEP_4)
	v_mad_co_u64_u32 v[33:34], null, s5, v10, v[7:8]
	v_mov_b32_e32 v7, v36
	v_add_co_u32 v23, vcc_lo, v38, v23
	v_lshlrev_b64_e32 v[29:30], 2, v[30:31]
	s_wait_alu 0xfffd
	v_add_co_ci_u32_e32 v24, vcc_lo, v39, v24, vcc_lo
	v_mad_co_u64_u32 v[36:37], null, s5, v8, v[7:8]
	v_add_co_u32 v27, vcc_lo, v38, v27
	v_lshlrev_b64_e32 v[31:32], 2, v[32:33]
	s_wait_alu 0xfffd
	v_add_co_ci_u32_e32 v28, vcc_lo, v39, v28, vcc_lo
	v_add_co_u32 v29, vcc_lo, v38, v29
	v_lshlrev_b64_e32 v[33:34], 2, v[35:36]
	s_wait_alu 0xfffd
	v_add_co_ci_u32_e32 v30, vcc_lo, v39, v30, vcc_lo
	v_add_co_u32 v31, vcc_lo, v38, v31
	s_wait_alu 0xfffd
	v_add_co_ci_u32_e32 v32, vcc_lo, v39, v32, vcc_lo
	v_add_co_u32 v33, vcc_lo, v38, v33
	s_wait_alu 0xfffd
	v_add_co_ci_u32_e32 v34, vcc_lo, v39, v34, vcc_lo
	s_clause 0x9
	global_load_b32 v3, v[3:4], off
	global_load_b32 v1, v[1:2], off
	;; [unrolled: 1-line block ×10, first 2 shown]
	v_add3_u32 v24, 0, v20, v19
	s_wait_loadcnt 0x8
	ds_store_2addr_b32 v24, v3, v1 offset1:16
	s_wait_loadcnt 0x6
	ds_store_2addr_b32 v24, v2, v4 offset0:32 offset1:48
	s_wait_loadcnt 0x4
	ds_store_2addr_b32 v24, v5, v6 offset0:64 offset1:80
	;; [unrolled: 2-line block ×4, first 2 shown]
.LBB0_14:
	s_or_b32 exec_lo, exec_lo, s1
	s_mov_b32 s18, 0x55540000
	s_movk_i32 s19, 0x55
	s_mov_b32 s1, s0
	s_mov_b32 s25, s0
	s_wait_alu 0xfffe
	s_add_nc_u64 s[18:19], s[0:1], s[18:19]
	v_lshrrev_b32_e32 v1, 4, v0
	s_wait_alu 0xfffe
	s_add_co_i32 s19, s19, 0x15555500
	v_and_b32_e32 v27, 15, v0
	s_wait_alu 0xfffe
	s_mul_u64 s[20:21], s[18:19], -12
	global_wb scope:SCOPE_SE
	s_wait_dscnt 0x0
	s_wait_alu 0xfffe
	s_mul_hi_u32 s23, s18, s21
	s_mul_i32 s22, s18, s21
	s_mul_hi_u32 s24, s18, s20
	s_mul_i32 s15, s19, s20
	s_wait_alu 0xfffe
	s_add_nc_u64 s[22:23], s[24:25], s[22:23]
	s_mul_hi_u32 s1, s19, s20
	s_mul_hi_u32 s24, s19, s21
	s_add_co_u32 s15, s22, s15
	s_add_co_ci_u32 s20, s23, s1
	s_wait_alu 0xfffe
	s_add_co_ci_u32 s23, s24, 0
	s_mul_i32 s22, s19, s21
	s_mov_b32 s21, s0
	s_barrier_signal -1
	s_wait_alu 0xfffe
	s_add_nc_u64 s[0:1], s[20:21], s[22:23]
	s_barrier_wait -1
	v_add_co_u32 v3, s0, s18, s0
	s_delay_alu instid0(VALU_DEP_1) | instskip(SKIP_4) | instid1(VALU_DEP_2)
	s_cmp_lg_u32 s0, 0
	v_add_co_u32 v25, s0, s16, v1
	s_wait_alu 0xf1ff
	v_add_co_ci_u32_e64 v5, null, s17, 0, s0
	s_add_co_ci_u32 s0, s19, s1
	v_mul_hi_u32 v6, v25, v3
	s_wait_alu 0xfffe
	v_mad_co_u64_u32 v[1:2], null, v25, s0, 0
	v_mad_co_u64_u32 v[3:4], null, v5, v3, 0
	global_inv scope:SCOPE_SE
	v_or_b32_e32 v29, 16, v27
	v_add_co_u32 v6, vcc_lo, v6, v1
	s_wait_alu 0xfffd
	v_add_co_ci_u32_e32 v7, vcc_lo, 0, v2, vcc_lo
	v_mad_co_u64_u32 v[1:2], null, v5, s0, 0
	s_delay_alu instid0(VALU_DEP_3) | instskip(SKIP_1) | instid1(VALU_DEP_3)
	v_add_co_u32 v3, vcc_lo, v6, v3
	s_wait_alu 0xfffd
	v_add_co_ci_u32_e32 v3, vcc_lo, v7, v4, vcc_lo
	v_cmp_lt_u32_e64 s0, 7, v27
	s_wait_alu 0xfffd
	s_delay_alu instid0(VALU_DEP_4) | instskip(NEXT) | instid1(VALU_DEP_3)
	v_add_co_ci_u32_e32 v2, vcc_lo, 0, v2, vcc_lo
	v_add_co_u32 v1, vcc_lo, v3, v1
	s_wait_alu 0xfffd
	s_delay_alu instid0(VALU_DEP_2) | instskip(NEXT) | instid1(VALU_DEP_2)
	v_add_co_ci_u32_e32 v3, vcc_lo, 0, v2, vcc_lo
	v_mad_co_u64_u32 v[1:2], null, v1, 12, 0
	s_delay_alu instid0(VALU_DEP_1) | instskip(NEXT) | instid1(VALU_DEP_2)
	v_mad_co_u64_u32 v[2:3], null, v3, 12, v[2:3]
	v_sub_co_u32 v1, vcc_lo, v25, v1
	s_wait_alu 0xfffd
	s_delay_alu instid0(VALU_DEP_2) | instskip(NEXT) | instid1(VALU_DEP_2)
	v_sub_co_ci_u32_e32 v2, vcc_lo, v5, v2, vcc_lo
	v_sub_co_u32 v3, vcc_lo, v1, 12
	s_wait_alu 0xfffd
	s_delay_alu instid0(VALU_DEP_2) | instskip(NEXT) | instid1(VALU_DEP_2)
	v_subrev_co_ci_u32_e32 v4, vcc_lo, 0, v2, vcc_lo
	v_cmp_lt_u32_e32 vcc_lo, 11, v3
	s_wait_alu 0xfffd
	v_cndmask_b32_e64 v5, 0, -1, vcc_lo
	v_cmp_lt_u32_e32 vcc_lo, 11, v1
	s_wait_alu 0xfffd
	v_cndmask_b32_e64 v6, 0, -1, vcc_lo
	v_cmp_eq_u32_e32 vcc_lo, 0, v4
	s_wait_alu 0xfffd
	v_dual_cndmask_b32 v4, -1, v5 :: v_dual_add_nc_u32 v5, -12, v3
	v_cmp_eq_u32_e32 vcc_lo, 0, v2
	s_wait_alu 0xfffd
	v_cndmask_b32_e32 v2, -1, v6, vcc_lo
	s_delay_alu instid0(VALU_DEP_3) | instskip(SKIP_2) | instid1(VALU_DEP_3)
	v_cmp_ne_u32_e32 vcc_lo, 0, v4
	s_wait_alu 0xfffd
	v_cndmask_b32_e32 v3, v3, v5, vcc_lo
	v_cmp_ne_u32_e32 vcc_lo, 0, v2
	s_wait_alu 0xfffd
	s_delay_alu instid0(VALU_DEP_2) | instskip(SKIP_2) | instid1(VALU_DEP_3)
	v_cndmask_b32_e32 v1, v1, v3, vcc_lo
	v_lshlrev_b32_e32 v3, 2, v27
	v_cmp_gt_u32_e32 vcc_lo, 8, v27
	v_mul_u32_u24_e32 v26, 0xa0, v1
	s_delay_alu instid0(VALU_DEP_3) | instskip(NEXT) | instid1(VALU_DEP_2)
	v_add_nc_u32_e32 v1, 0, v3
	v_lshlrev_b32_e32 v2, 2, v26
	s_delay_alu instid0(VALU_DEP_1) | instskip(NEXT) | instid1(VALU_DEP_3)
	v_add_nc_u32_e32 v22, 0, v2
	v_add_nc_u32_e32 v21, v1, v2
	ds_load_2addr_b32 v[23:24], v21 offset0:16 offset1:32
	ds_load_2addr_b32 v[6:7], v21 offset0:72 offset1:80
	;; [unrolled: 1-line block ×4, first 2 shown]
	ds_load_b32 v28, v21 offset:608
	ds_load_2addr_b32 v[32:33], v21 offset0:120 offset1:136
	v_add_nc_u32_e32 v34, v22, v3
	v_mad_u32_u24 v3, v27, 12, v1
	v_lshl_add_u32 v37, v29, 4, v22
	ds_load_b32 v35, v34
	v_add_nc_u32_e32 v36, v3, v2
	global_wb scope:SCOPE_SE
	s_wait_dscnt 0x0
	s_barrier_signal -1
	s_barrier_wait -1
	global_inv scope:SCOPE_SE
	v_pk_add_f16 v5, v24, v5 neg_lo:[0,1] neg_hi:[0,1]
	v_pk_add_f16 v38, v23, v4 neg_lo:[0,1] neg_hi:[0,1]
	;; [unrolled: 1-line block ×5, first 2 shown]
	v_pk_fma_f16 v4, v24, 2.0, v5 op_sel_hi:[1,0,1] neg_lo:[0,0,1] neg_hi:[0,0,1]
	s_wait_alu 0xf1ff
	v_alignbit_b32 v40, s0, v38, 16
	v_pk_fma_f16 v1, v6, 2.0, v28 op_sel_hi:[1,0,1] neg_lo:[0,0,1] neg_hi:[0,0,1]
	v_pk_add_f16 v22, v5, v28 op_sel:[0,1] op_sel_hi:[1,0] neg_lo:[0,1] neg_hi:[0,1]
	v_pk_add_f16 v7, v35, v7 neg_lo:[0,1] neg_hi:[0,1]
	v_pk_add_f16 v6, v5, v28 op_sel:[0,1] op_sel_hi:[1,0]
	v_alignbit_b32 v28, s0, v32, 16
	v_pk_fma_f16 v24, v30, 2.0, v32 op_sel_hi:[1,0,1] neg_lo:[0,0,1] neg_hi:[0,0,1]
	v_pk_fma_f16 v30, v31, 2.0, v33 op_sel_hi:[1,0,1] neg_lo:[0,0,1] neg_hi:[0,0,1]
	v_alignbit_b32 v41, s0, v7, 16
	v_alignbit_b32 v31, s0, v33, 16
	v_pk_fma_f16 v23, v23, 2.0, v38 op_sel_hi:[1,0,1] neg_lo:[0,0,1] neg_hi:[0,0,1]
	v_pk_fma_f16 v35, v35, 2.0, v7 op_sel_hi:[1,0,1] neg_lo:[0,0,1] neg_hi:[0,0,1]
	v_pk_add_f16 v28, v7, v28 neg_lo:[0,1] neg_hi:[0,1]
	v_lshrrev_b32_e32 v42, 16, v7
	v_pk_add_f16 v32, v41, v32
	v_lshrrev_b32_e32 v39, 16, v38
	v_pk_add_f16 v31, v38, v31 neg_lo:[0,1] neg_hi:[0,1]
	v_pk_add_f16 v33, v40, v33
	v_pk_add_f16 v30, v23, v30 neg_lo:[0,1] neg_hi:[0,1]
	v_pk_add_f16 v24, v35, v24 neg_lo:[0,1] neg_hi:[0,1]
	v_fma_f16 v7, v7, 2.0, -v28
	v_fma_f16 v40, v42, 2.0, -v32
	;; [unrolled: 1-line block ×4, first 2 shown]
	v_pk_fma_f16 v41, v23, 2.0, v30 op_sel_hi:[1,0,1] neg_lo:[0,0,1] neg_hi:[0,0,1]
	v_pk_fma_f16 v35, v35, 2.0, v24 op_sel_hi:[1,0,1] neg_lo:[0,0,1] neg_hi:[0,0,1]
	v_pack_b32_f16 v7, v7, v40
	v_lshrrev_b32_e32 v23, 16, v6
	v_pack_b32_f16 v28, v28, v32
	v_pack_b32_f16 v32, v38, v39
	;; [unrolled: 1-line block ×3, first 2 shown]
	ds_store_2addr_b32 v36, v35, v7 offset1:1
	ds_store_2addr_b32 v36, v24, v28 offset0:2 offset1:3
	ds_store_2addr_b32 v37, v41, v32 offset1:1
	ds_store_2addr_b32 v37, v30, v31 offset0:2 offset1:3
	s_and_saveexec_b32 s1, s0
	s_wait_alu 0xfffe
	s_xor_b32 s0, exec_lo, s1
; %bb.15:
                                        ; implicit-def: $vgpr6
                                        ; implicit-def: $vgpr5
; %bb.16:
	s_wait_alu 0xfffe
	s_or_saveexec_b32 s0, s0
	v_pk_add_f16 v1, v4, v1 neg_lo:[0,1] neg_hi:[0,1]
	v_or_b32_e32 v28, 32, v27
	s_wait_alu 0xfffe
	s_xor_b32 exec_lo, exec_lo, s0
	s_cbranch_execz .LBB0_18
; %bb.17:
	s_delay_alu instid0(VALU_DEP_1) | instskip(SKIP_2) | instid1(VALU_DEP_3)
	v_lshlrev_b32_e32 v7, 4, v28
	v_bfi_b32 v6, 0xffff, v22, v6
	v_pk_fma_f16 v4, v4, 2.0, v1 op_sel_hi:[1,0,1] neg_lo:[0,0,1] neg_hi:[0,0,1]
	v_add3_u32 v7, 0, v7, v2
	s_delay_alu instid0(VALU_DEP_3)
	v_pk_fma_f16 v5, v5, 2.0, v6 op_sel_hi:[1,0,1] neg_lo:[0,0,1] neg_hi:[0,0,1]
	ds_store_2addr_b32 v7, v4, v5 offset1:1
	ds_store_2addr_b32 v7, v1, v6 offset0:2 offset1:3
.LBB0_18:
	s_or_b32 exec_lo, exec_lo, s0
	v_and_b32_e32 v0, 3, v0
	global_wb scope:SCOPE_SE
	s_wait_dscnt 0x0
	s_barrier_signal -1
	s_barrier_wait -1
	global_inv scope:SCOPE_SE
	v_mul_u32_u24_e32 v4, 9, v0
	v_mad_i32_i24 v30, v27, -12, v3
	v_lshrrev_b32_e32 v43, 2, v27
	s_delay_alu instid0(VALU_DEP_3)
	v_lshlrev_b32_e32 v24, 2, v4
	s_clause 0x2
	global_load_b128 v[4:7], v24, s[2:3]
	global_load_b128 v[35:38], v24, s[2:3] offset:16
	global_load_b32 v33, v24, s[2:3] offset:32
	v_add_nc_u32_e32 v24, v30, v2
	ds_load_b32 v3, v34
	ds_load_2addr_b32 v[31:32], v21 offset0:80 offset1:96
	ds_load_b32 v45, v21 offset:448
	v_mul_u32_u24_e32 v46, 40, v43
	ds_load_2addr_b32 v[39:40], v24 offset0:128 offset1:144
	ds_load_2addr_b32 v[41:42], v24 offset0:16 offset1:32
	;; [unrolled: 1-line block ×3, first 2 shown]
	v_or_b32_e32 v0, v46, v0
	global_wb scope:SCOPE_SE
	s_wait_loadcnt_dscnt 0x0
	s_barrier_signal -1
	s_barrier_wait -1
	global_inv scope:SCOPE_SE
	v_lshlrev_b32_e32 v0, 2, v0
	s_delay_alu instid0(VALU_DEP_1)
	v_add3_u32 v2, 0, v0, v2
	v_lshrrev_b32_e32 v46, 16, v3
	v_lshrrev_b32_e32 v47, 16, v32
	;; [unrolled: 1-line block ×19, first 2 shown]
	v_mul_f16_e32 v64, v55, v51
	v_mul_f16_e32 v55, v55, v41
	;; [unrolled: 1-line block ×18, first 2 shown]
	v_fma_f16 v41, v4, v41, -v64
	v_fmac_f16_e32 v55, v4, v51
	v_fma_f16 v4, v5, v42, -v65
	v_fmac_f16_e32 v56, v5, v52
	;; [unrolled: 2-line block ×9, first 2 shown]
	v_add_f16_e32 v33, v3, v4
	v_add_f16_e32 v36, v6, v31
	v_sub_f16_e32 v37, v56, v62
	v_sub_f16_e32 v39, v4, v6
	;; [unrolled: 1-line block ×3, first 2 shown]
	v_add_f16_e32 v42, v4, v35
	v_add_f16_e32 v45, v46, v56
	;; [unrolled: 1-line block ×3, first 2 shown]
	v_sub_f16_e32 v49, v56, v58
	v_add_f16_e32 v51, v56, v62
	v_sub_f16_e32 v52, v58, v56
	v_add_f16_e32 v54, v41, v5
	v_add_f16_e32 v56, v7, v32
	;; [unrolled: 1-line block ×5, first 2 shown]
	v_sub_f16_e32 v43, v6, v4
	v_sub_f16_e32 v44, v31, v35
	;; [unrolled: 1-line block ×7, first 2 shown]
	v_add_f16_e32 v71, v55, v57
	v_sub_f16_e32 v5, v5, v0
	v_sub_f16_e32 v73, v7, v32
	v_add_f16_e32 v6, v33, v6
	v_fma_f16 v33, -0.5, v36, v3
	v_add_f16_e32 v36, v39, v40
	v_fmac_f16_e32 v3, -0.5, v42
	v_add_f16_e32 v40, v45, v58
	v_fma_f16 v42, -0.5, v47, v46
	v_fmac_f16_e32 v46, -0.5, v51
	v_add_f16_e32 v7, v54, v7
	v_fma_f16 v45, -0.5, v56, v41
	v_fma_f16 v51, -0.5, v72, v55
	v_sub_f16_e32 v65, v59, v61
	v_fmac_f16_e32 v41, -0.5, v68
	v_fmac_f16_e32 v55, -0.5, v76
	v_sub_f16_e32 v53, v60, v62
	v_sub_f16_e32 v67, v0, v32
	;; [unrolled: 1-line block ×6, first 2 shown]
	v_add_f16_e32 v39, v43, v44
	v_add_f16_e32 v43, v49, v50
	;; [unrolled: 1-line block ×4, first 2 shown]
	v_fmamk_f16 v32, v64, 0x3b9c, v45
	v_fmamk_f16 v59, v5, 0xbb9c, v51
	v_sub_f16_e32 v38, v58, v60
	v_sub_f16_e32 v77, v61, v63
	v_add_f16_e32 v40, v40, v60
	v_fmamk_f16 v58, v65, 0xbb9c, v41
	v_fmac_f16_e32 v41, 0x3b9c, v65
	v_fmamk_f16 v60, v73, 0x3b9c, v55
	v_fmac_f16_e32 v55, 0xbb9c, v73
	v_sub_f16_e32 v4, v4, v35
	v_fmac_f16_e32 v45, 0xbb9c, v64
	v_fmac_f16_e32 v51, 0x3b9c, v5
	v_add_f16_e32 v44, v52, v53
	v_add_f16_e32 v47, v66, v67
	;; [unrolled: 1-line block ×4, first 2 shown]
	v_fmac_f16_e32 v32, 0x38b4, v65
	v_fmac_f16_e32 v59, 0xb8b4, v73
	v_add_f16_e32 v49, v69, v70
	v_add_f16_e32 v53, v57, v77
	v_fmamk_f16 v31, v37, 0x3b9c, v33
	v_fmac_f16_e32 v33, 0xbb9c, v37
	v_fmamk_f16 v54, v38, 0xbb9c, v3
	v_fmac_f16_e32 v3, 0x3b9c, v38
	;; [unrolled: 2-line block ×3, first 2 shown]
	v_add_f16_e32 v50, v50, v61
	v_fmac_f16_e32 v58, 0x38b4, v64
	v_fmac_f16_e32 v41, 0xb8b4, v64
	;; [unrolled: 1-line block ×4, first 2 shown]
	v_fmamk_f16 v56, v4, 0xbb9c, v42
	v_fmac_f16_e32 v42, 0x3b9c, v4
	v_fmac_f16_e32 v45, 0xb8b4, v65
	;; [unrolled: 1-line block ×3, first 2 shown]
	v_add_f16_e32 v6, v6, v35
	v_add_f16_e32 v0, v7, v0
	v_fmac_f16_e32 v32, 0x34f2, v47
	v_fmac_f16_e32 v59, 0x34f2, v52
	;; [unrolled: 1-line block ×6, first 2 shown]
	v_add_f16_e32 v35, v40, v62
	v_fmac_f16_e32 v57, 0xb8b4, v4
	v_fmac_f16_e32 v46, 0x38b4, v4
	v_add_f16_e32 v4, v50, v63
	v_fmac_f16_e32 v58, 0x34f2, v49
	v_fmac_f16_e32 v41, 0x34f2, v49
	;; [unrolled: 1-line block ×8, first 2 shown]
	v_add_f16_e32 v5, v6, v0
	v_sub_f16_e32 v0, v6, v0
	v_mul_f16_e32 v6, 0x38b4, v59
	v_mul_f16_e32 v38, 0xb8b4, v32
	v_fmac_f16_e32 v31, 0x34f2, v36
	v_fmac_f16_e32 v33, 0x34f2, v36
	;; [unrolled: 1-line block ×4, first 2 shown]
	v_add_f16_e32 v7, v35, v4
	v_sub_f16_e32 v4, v35, v4
	v_mul_f16_e32 v35, 0x3b9c, v60
	v_mul_f16_e32 v36, 0x34f2, v41
	;; [unrolled: 1-line block ×4, first 2 shown]
	v_fmac_f16_e32 v56, 0x34f2, v43
	v_fmac_f16_e32 v42, 0x34f2, v43
	v_mul_f16_e32 v37, 0x3a79, v45
	v_mul_f16_e32 v43, 0x3a79, v51
	v_fmac_f16_e32 v6, 0x3a79, v32
	v_fmac_f16_e32 v38, 0x3a79, v59
	;; [unrolled: 1-line block ×4, first 2 shown]
	v_pack_b32_f16 v4, v0, v4
	v_fmac_f16_e32 v35, 0x34f2, v58
	v_fma_f16 v0, v55, 0x3b9c, -v36
	v_fmac_f16_e32 v39, 0x34f2, v60
	v_fma_f16 v32, v41, 0xbb9c, -v40
	v_pack_b32_f16 v5, v5, v7
	v_fma_f16 v7, v51, 0x38b4, -v37
	v_fma_f16 v36, v45, 0xb8b4, -v43
	v_add_f16_e32 v37, v31, v6
	v_add_f16_e32 v44, v56, v38
	;; [unrolled: 1-line block ×8, first 2 shown]
	v_sub_f16_e32 v6, v31, v6
	v_sub_f16_e32 v35, v54, v35
	;; [unrolled: 1-line block ×8, first 2 shown]
	v_pack_b32_f16 v36, v37, v44
	v_pack_b32_f16 v37, v40, v45
	;; [unrolled: 1-line block ×8, first 2 shown]
	ds_store_2addr_b32 v2, v5, v36 offset1:4
	ds_store_2addr_b32 v2, v37, v38 offset0:8 offset1:12
	ds_store_2addr_b32 v2, v39, v4 offset0:16 offset1:20
	;; [unrolled: 1-line block ×4, first 2 shown]
	global_wb scope:SCOPE_SE
	s_wait_dscnt 0x0
	s_barrier_signal -1
	s_barrier_wait -1
	global_inv scope:SCOPE_SE
	ds_load_2addr_b32 v[6:7], v21 offset0:40 offset1:56
	ds_load_2addr_b32 v[4:5], v21 offset0:80 offset1:96
	ds_load_2addr_b32 v[2:3], v21 offset0:120 offset1:136
	ds_load_b32 v35, v34
	ds_load_b32 v34, v24 offset:64
	s_and_saveexec_b32 s0, vcc_lo
	s_cbranch_execz .LBB0_20
; %bb.19:
	ds_load_b32 v31, v24 offset:128
	ds_load_b32 v22, v21 offset:608
	ds_load_2addr_b32 v[0:1], v21 offset0:72 offset1:112
	s_wait_dscnt 0x2
	v_lshrrev_b32_e32 v32, 16, v31
	s_wait_dscnt 0x1
	v_lshrrev_b32_e32 v23, 16, v22
	;; [unrolled: 2-line block ×3, first 2 shown]
.LBB0_20:
	s_wait_alu 0xfffe
	s_or_b32 exec_lo, exec_lo, s0
	v_mul_lo_u32 v29, v25, v29
	v_mul_lo_u32 v38, v25, v27
	v_add_nc_u32_e32 v36, 40, v27
	v_mul_u32_u24_e32 v37, 3, v27
	v_or_b32_e32 v39, 0x50, v27
	v_add_nc_u32_e32 v40, 0x78, v27
	v_add_nc_u32_e32 v50, 56, v27
	v_mul_lo_u32 v36, v25, v36
	v_and_b32_e32 v49, 0xff, v29
	v_lshrrev_b32_e32 v29, 6, v29
	v_lshlrev_b32_e32 v37, 2, v37
	v_and_b32_e32 v47, 0xff, v38
	v_lshrrev_b32_e32 v38, 6, v38
	v_lshlrev_b32_e32 v49, 2, v49
	v_mul_lo_u32 v39, v25, v39
	v_and_b32_e32 v29, 0x3fc, v29
	s_clause 0x1
	global_load_b96 v[41:43], v37, s[2:3] offset:144
	global_load_b96 v[44:46], v37, s[2:3] offset:336
	v_lshlrev_b32_e32 v37, 2, v47
	v_and_b32_e32 v38, 0x3fc, v38
	v_mul_lo_u32 v40, v25, v40
	v_and_b32_e32 v48, 0xff, v36
	s_clause 0x3
	global_load_b32 v49, v49, s[8:9]
	global_load_b32 v52, v29, s[8:9] offset:1024
	global_load_b32 v53, v37, s[8:9]
	global_load_b32 v54, v38, s[8:9] offset:1024
	v_or_b32_e32 v29, 0x60, v27
	v_add_nc_u32_e32 v37, 0x88, v27
	v_lshrrev_b32_e32 v36, 6, v36
	v_mul_lo_u32 v50, v25, v50
	v_lshlrev_b32_e32 v47, 2, v48
	v_and_b32_e32 v48, 0xff, v39
	v_lshrrev_b32_e32 v39, 6, v39
	v_mul_lo_u32 v29, v25, v29
	v_and_b32_e32 v51, 0xff, v40
	v_lshrrev_b32_e32 v40, 6, v40
	v_mul_lo_u32 v37, v25, v37
	v_and_b32_e32 v36, 0x3fc, v36
	v_lshlrev_b32_e32 v48, 2, v48
	v_and_b32_e32 v39, 0x3fc, v39
	v_lshlrev_b32_e32 v38, 2, v51
	v_and_b32_e32 v51, 0xff, v50
	v_and_b32_e32 v40, 0x3fc, v40
	s_clause 0x5
	global_load_b32 v47, v47, s[8:9]
	global_load_b32 v55, v36, s[8:9] offset:1024
	global_load_b32 v48, v48, s[8:9]
	global_load_b32 v56, v39, s[8:9] offset:1024
	;; [unrolled: 2-line block ×3, first 2 shown]
	v_lshrrev_b32_e32 v38, 6, v50
	v_and_b32_e32 v39, 0xff, v29
	v_lshrrev_b32_e32 v29, 6, v29
	v_and_b32_e32 v40, 0xff, v37
	v_lshlrev_b32_e32 v36, 2, v51
	v_lshrrev_b32_e32 v37, 6, v37
	v_and_b32_e32 v38, 0x3fc, v38
	v_lshlrev_b32_e32 v39, 2, v39
	v_add_nc_u32_e32 v27, -8, v27
	v_cmp_gt_u32_e64 s0, 40, v28
	v_and_b32_e32 v29, 0x3fc, v29
	v_lshlrev_b32_e32 v40, 2, v40
	v_and_b32_e32 v37, 0x3fc, v37
	s_clause 0x5
	global_load_b32 v50, v36, s[8:9]
	global_load_b32 v51, v38, s[8:9] offset:1024
	global_load_b32 v59, v39, s[8:9]
	global_load_b32 v60, v29, s[8:9] offset:1024
	;; [unrolled: 2-line block ×3, first 2 shown]
	s_wait_alu 0xf1ff
	v_cndmask_b32_e64 v40, v27, v28, s0
	s_wait_dscnt 0x2
	v_lshrrev_b32_e32 v67, 16, v2
	v_lshrrev_b32_e32 v68, 16, v4
	;; [unrolled: 1-line block ×3, first 2 shown]
	v_lshl_add_u32 v26, v26, 2, v30
	v_mul_lo_u32 v27, v25, v40
	v_add_nc_u32_e32 v28, 40, v40
	v_add_nc_u32_e32 v29, 0x50, v40
	v_add_nc_u32_e32 v36, 0x78, v40
	s_wait_dscnt 0x1
	v_lshrrev_b32_e32 v30, 16, v35
	v_mul_lo_u32 v28, v25, v28
	v_mul_lo_u32 v29, v25, v29
	;; [unrolled: 1-line block ×3, first 2 shown]
	v_and_b32_e32 v37, 0xff, v27
	v_lshrrev_b32_e32 v27, 6, v27
	s_delay_alu instid0(VALU_DEP_2) | instskip(NEXT) | instid1(VALU_DEP_2)
	v_lshlrev_b32_e32 v36, 2, v37
	v_and_b32_e32 v37, 0x3fc, v27
	v_and_b32_e32 v27, 0xff, v28
	v_lshrrev_b32_e32 v28, 6, v28
	v_and_b32_e32 v38, 0xff, v29
	v_and_b32_e32 v39, 0xff, v25
	v_lshrrev_b32_e32 v29, 6, v29
	v_lshrrev_b32_e32 v25, 6, v25
	v_lshlrev_b32_e32 v63, 2, v27
	v_and_b32_e32 v64, 0x3fc, v28
	v_lshlrev_b32_e32 v38, 2, v38
	v_lshlrev_b32_e32 v39, 2, v39
	v_and_b32_e32 v65, 0x3fc, v29
	v_and_b32_e32 v66, 0x3fc, v25
	s_clause 0x7
	global_load_b32 v27, v36, s[8:9]
	global_load_b32 v25, v37, s[8:9] offset:1024
	global_load_b32 v28, v63, s[8:9]
	global_load_b32 v29, v64, s[8:9] offset:1024
	;; [unrolled: 2-line block ×4, first 2 shown]
	v_lshrrev_b32_e32 v64, 16, v3
	v_lshrrev_b32_e32 v65, 16, v5
	;; [unrolled: 1-line block ×3, first 2 shown]
	s_wait_dscnt 0x0
	v_lshrrev_b32_e32 v63, 16, v34
	global_wb scope:SCOPE_SE
	s_wait_loadcnt 0x0
	s_barrier_signal -1
	s_barrier_wait -1
	global_inv scope:SCOPE_SE
	v_lshrrev_b32_e32 v70, 16, v41
	v_lshrrev_b32_e32 v71, 16, v42
	;; [unrolled: 1-line block ×6, first 2 shown]
	v_mul_f16_e32 v76, v70, v69
	v_mul_f16_e32 v70, v70, v6
	v_mul_f16_e32 v77, v71, v68
	v_mul_f16_e32 v71, v71, v4
	v_mul_f16_e32 v78, v72, v67
	v_mul_f16_e32 v72, v72, v2
	v_mul_f16_e32 v79, v73, v66
	v_mul_f16_e32 v73, v73, v7
	v_mul_f16_e32 v80, v74, v65
	v_mul_f16_e32 v74, v74, v5
	v_mul_f16_e32 v81, v75, v64
	v_mul_f16_e32 v75, v75, v3
	v_lshrrev_b32_e32 v82, 16, v53
	v_lshrrev_b32_e32 v83, 16, v54
	;; [unrolled: 1-line block ×4, first 2 shown]
	v_fma_f16 v6, v41, v6, -v76
	v_fmac_f16_e32 v70, v41, v69
	v_fma_f16 v4, v42, v4, -v77
	v_fmac_f16_e32 v71, v42, v68
	;; [unrolled: 2-line block ×6, first 2 shown]
	v_mul_f16_e32 v41, v82, v83
	v_mul_f16_e32 v42, v53, v83
	v_lshrrev_b32_e32 v43, 16, v47
	v_lshrrev_b32_e32 v44, 16, v55
	;; [unrolled: 1-line block ×4, first 2 shown]
	v_mul_f16_e32 v66, v84, v85
	v_mul_f16_e32 v67, v49, v85
	v_lshrrev_b32_e32 v68, 16, v50
	v_lshrrev_b32_e32 v69, 16, v51
	v_lshrrev_b32_e32 v78, 16, v61
	v_lshrrev_b32_e32 v79, 16, v62
	v_sub_f16_e32 v4, v35, v4
	v_sub_f16_e32 v71, v30, v71
	;; [unrolled: 1-line block ×4, first 2 shown]
	v_lshrrev_b32_e32 v64, 16, v57
	v_lshrrev_b32_e32 v65, 16, v58
	v_sub_f16_e32 v5, v34, v5
	v_sub_f16_e32 v74, v63, v74
	;; [unrolled: 1-line block ×4, first 2 shown]
	v_lshrrev_b32_e32 v76, 16, v59
	v_lshrrev_b32_e32 v77, 16, v60
	v_fma_f16 v41, v53, v54, -v41
	v_fmac_f16_e32 v42, v82, v54
	v_mul_f16_e32 v53, v43, v44
	v_mul_f16_e32 v44, v47, v44
	;; [unrolled: 1-line block ×3, first 2 shown]
	v_fma_f16 v49, v49, v52, -v66
	v_fmac_f16_e32 v67, v84, v52
	v_mul_f16_e32 v52, v68, v69
	v_mul_f16_e32 v81, v78, v79
	;; [unrolled: 1-line block ×3, first 2 shown]
	v_fma_f16 v35, v35, 2.0, -v4
	v_fma_f16 v30, v30, 2.0, -v71
	;; [unrolled: 1-line block ×4, first 2 shown]
	v_mul_f16_e32 v46, v48, v46
	v_mul_f16_e32 v80, v64, v65
	;; [unrolled: 1-line block ×3, first 2 shown]
	v_fma_f16 v34, v34, 2.0, -v5
	v_fma_f16 v63, v63, 2.0, -v74
	;; [unrolled: 1-line block ×4, first 2 shown]
	v_mul_f16_e32 v66, v50, v69
	v_mul_f16_e32 v69, v76, v77
	v_sub_f16_e32 v72, v4, v72
	v_add_f16_e32 v2, v71, v2
	v_sub_f16_e32 v75, v5, v75
	v_fmac_f16_e32 v44, v43, v55
	v_fma_f16 v43, v48, v56, -v54
	v_fma_f16 v48, v50, v51, -v52
	v_fmac_f16_e32 v79, v78, v62
	v_sub_f16_e32 v6, v35, v6
	v_sub_f16_e32 v52, v30, v70
	v_mul_f16_e32 v77, v59, v77
	v_fmac_f16_e32 v46, v45, v56
	v_fmac_f16_e32 v65, v64, v58
	v_sub_f16_e32 v7, v34, v7
	v_sub_f16_e32 v54, v63, v73
	v_add_f16_e32 v3, v74, v3
	v_fma_f16 v47, v47, v55, -v53
	v_fmac_f16_e32 v66, v68, v51
	v_fma_f16 v50, v59, v60, -v69
	v_fma_f16 v51, v61, v62, -v81
	v_fma_f16 v4, v4, 2.0, -v72
	v_fma_f16 v53, v71, 2.0, -v2
	v_mul_f16_e32 v59, v75, v79
	v_fma_f16 v35, v35, 2.0, -v6
	v_fma_f16 v30, v30, 2.0, -v52
	v_fma_f16 v45, v57, v58, -v80
	v_fmac_f16_e32 v77, v76, v60
	v_mul_f16_e32 v56, v2, v65
	v_mul_f16_e32 v57, v72, v65
	v_fma_f16 v34, v34, 2.0, -v7
	v_fma_f16 v60, v63, 2.0, -v54
	v_mul_f16_e32 v62, v52, v46
	v_mul_f16_e32 v46, v6, v46
	v_fma_f16 v55, v74, 2.0, -v3
	v_mul_f16_e32 v58, v3, v79
	v_mul_f16_e32 v61, v53, v44
	;; [unrolled: 1-line block ×3, first 2 shown]
	v_fmac_f16_e32 v59, v3, v51
	v_mul_f16_e32 v3, v30, v42
	v_mul_f16_e32 v42, v35, v42
	v_fma_f16 v56, v72, v45, -v56
	v_fmac_f16_e32 v57, v2, v45
	v_fma_f16 v6, v6, v43, -v62
	v_fmac_f16_e32 v46, v52, v43
	v_mul_f16_e32 v43, v60, v67
	v_mul_f16_e32 v45, v34, v67
	v_fma_f16 v5, v5, 2.0, -v75
	v_fma_f16 v4, v4, v47, -v61
	v_fmac_f16_e32 v44, v53, v47
	v_fma_f16 v3, v35, v41, -v3
	v_fmac_f16_e32 v42, v30, v41
	;; [unrolled: 2-line block ×3, first 2 shown]
	v_mul_f16_e32 v63, v55, v66
	v_mul_f16_e32 v64, v5, v66
	;; [unrolled: 1-line block ×4, first 2 shown]
	v_pack_b32_f16 v34, v56, v57
	v_pack_b32_f16 v6, v6, v46
	;; [unrolled: 1-line block ×5, first 2 shown]
	v_fma_f16 v5, v5, v48, -v63
	v_fmac_f16_e32 v64, v55, v48
	v_fma_f16 v2, v75, v51, -v58
	v_fma_f16 v7, v7, v50, -v65
	v_fmac_f16_e32 v66, v54, v50
	ds_store_2addr_b32 v21, v6, v34 offset0:80 offset1:120
	ds_store_2addr_b32 v21, v3, v4 offset1:40
	ds_store_b32 v24, v30 offset:64
	ds_store_b16 v26, v5 offset:224
	ds_store_b16 v26, v64 offset:226
	;; [unrolled: 1-line block ×6, first 2 shown]
	s_and_saveexec_b32 s0, vcc_lo
	s_cbranch_execz .LBB0_22
; %bb.21:
	v_mul_i32_i24_e32 v2, 3, v40
	v_mov_b32_e32 v3, 0
	v_lshrrev_b32_e32 v26, 16, v39
	v_lshrrev_b32_e32 v30, 16, v38
	;; [unrolled: 1-line block ×4, first 2 shown]
	v_lshlrev_b64_e32 v[2:3], 2, v[2:3]
	v_lshrrev_b32_e32 v41, 16, v1
	v_mul_f16_e32 v42, v26, v30
	v_mul_f16_e32 v30, v39, v30
	;; [unrolled: 1-line block ×4, first 2 shown]
	v_add_co_u32 v2, vcc_lo, s2, v2
	s_wait_alu 0xfffd
	v_add_co_ci_u32_e32 v3, vcc_lo, s3, v3, vcc_lo
	v_fma_f16 v39, v39, v38, -v42
	v_fmac_f16_e32 v30, v26, v38
	v_fma_f16 v26, v37, v36, -v43
	global_load_b96 v[2:4], v[2:3], off offset:144
	v_lshrrev_b32_e32 v7, 16, v28
	v_lshrrev_b32_e32 v40, 16, v29
	;; [unrolled: 1-line block ×4, first 2 shown]
	v_fmac_f16_e32 v35, v34, v36
	s_delay_alu instid0(VALU_DEP_4) | instskip(SKIP_1) | instid1(VALU_DEP_4)
	v_mul_f16_e32 v44, v7, v40
	v_mul_f16_e32 v40, v28, v40
	;; [unrolled: 1-line block ×4, first 2 shown]
	s_delay_alu instid0(VALU_DEP_3) | instskip(NEXT) | instid1(VALU_DEP_3)
	v_fmac_f16_e32 v40, v7, v29
	v_fma_f16 v7, v27, v25, -v45
	s_delay_alu instid0(VALU_DEP_3) | instskip(SKIP_4) | instid1(VALU_DEP_3)
	v_fmac_f16_e32 v6, v5, v25
	s_wait_loadcnt 0x0
	v_lshrrev_b32_e32 v42, 16, v3
	v_lshrrev_b32_e32 v46, 16, v2
	;; [unrolled: 1-line block ×3, first 2 shown]
	v_mul_f16_e32 v37, v1, v42
	s_delay_alu instid0(VALU_DEP_3) | instskip(NEXT) | instid1(VALU_DEP_3)
	v_mul_f16_e32 v38, v33, v46
	v_mul_f16_e32 v43, v23, v47
	;; [unrolled: 1-line block ×5, first 2 shown]
	v_fmac_f16_e32 v37, v41, v3
	v_fma_f16 v0, v0, v2, -v38
	v_fma_f16 v22, v22, v4, -v43
	;; [unrolled: 1-line block ×3, first 2 shown]
	v_fmac_f16_e32 v46, v33, v2
	v_fmac_f16_e32 v47, v23, v4
	v_sub_f16_e32 v2, v32, v37
	v_sub_f16_e32 v3, v0, v22
	v_sub_f16_e32 v1, v31, v1
	v_fma_f16 v22, v28, v29, -v44
	v_sub_f16_e32 v4, v46, v47
	v_fma_f16 v28, v32, 2.0, -v2
	v_add_f16_e32 v23, v2, v3
	v_fma_f16 v29, v31, 2.0, -v1
	v_fma_f16 v0, v0, 2.0, -v3
	;; [unrolled: 1-line block ×3, first 2 shown]
	v_sub_f16_e32 v27, v1, v4
	v_fma_f16 v2, v2, 2.0, -v23
	v_mul_f16_e32 v5, v23, v30
	v_sub_f16_e32 v0, v29, v0
	v_sub_f16_e32 v3, v28, v3
	v_fma_f16 v1, v1, 2.0, -v27
	v_mul_f16_e32 v4, v27, v30
	v_mul_f16_e32 v31, v2, v40
	v_fma_f16 v25, v29, 2.0, -v0
	v_fma_f16 v28, v28, 2.0, -v3
	v_mul_f16_e32 v30, v1, v40
	v_fmac_f16_e32 v4, v23, v39
	v_mul_f16_e32 v23, v0, v35
	v_mul_f16_e32 v32, v25, v6
	;; [unrolled: 1-line block ×4, first 2 shown]
	v_fmac_f16_e32 v30, v2, v22
	v_fmac_f16_e32 v23, v3, v26
	;; [unrolled: 1-line block ×3, first 2 shown]
	v_fma_f16 v2, v25, v7, -v6
	v_fma_f16 v1, v1, v22, -v31
	;; [unrolled: 1-line block ×4, first 2 shown]
	s_delay_alu instid0(VALU_DEP_4) | instskip(NEXT) | instid1(VALU_DEP_4)
	v_pack_b32_f16 v2, v2, v32
	v_pack_b32_f16 v1, v1, v30
	s_delay_alu instid0(VALU_DEP_4) | instskip(NEXT) | instid1(VALU_DEP_4)
	v_pack_b32_f16 v0, v0, v23
	v_pack_b32_f16 v3, v3, v4
	ds_store_b32 v24, v2 offset:128
	ds_store_2addr_b32 v21, v1, v0 offset0:72 offset1:112
	ds_store_b32 v21, v3 offset:608
.LBB0_22:
	s_wait_alu 0xfffe
	s_or_b32 exec_lo, exec_lo, s0
	global_wb scope:SCOPE_SE
	s_wait_dscnt 0x0
	s_barrier_signal -1
	s_barrier_wait -1
	global_inv scope:SCOPE_SE
	s_and_saveexec_b32 s0, s14
	s_cbranch_execz .LBB0_24
; %bb.23:
	v_mad_co_u64_u32 v[0:1], null, s6, v18, 0
	v_mad_co_u64_u32 v[2:3], null, s4, v17, 0
	v_add3_u32 v24, 0, v20, v19
	s_lshl_b64 s[0:1], s[10:11], 2
	v_mad_co_u64_u32 v[20:21], null, s4, v14, 0
	s_wait_alu 0xfffe
	s_add_nc_u64 s[0:1], s[12:13], s[0:1]
	ds_load_2addr_b32 v[22:23], v24 offset0:32 offset1:48
	v_mad_co_u64_u32 v[4:5], null, s7, v18, v[1:2]
	v_mad_co_u64_u32 v[5:6], null, s4, v16, 0
	s_delay_alu instid0(VALU_DEP_2) | instskip(NEXT) | instid1(VALU_DEP_2)
	v_mad_co_u64_u32 v[17:18], null, s5, v17, v[3:4]
	v_dual_mov_b32 v1, v4 :: v_dual_mov_b32 v4, v6
	v_mad_co_u64_u32 v[18:19], null, s4, v15, 0
	s_delay_alu instid0(VALU_DEP_2) | instskip(NEXT) | instid1(VALU_DEP_4)
	v_lshlrev_b64_e32 v[0:1], 2, v[0:1]
	v_mov_b32_e32 v3, v17
	s_delay_alu instid0(VALU_DEP_4)
	v_mad_co_u64_u32 v[6:7], null, s5, v16, v[4:5]
	ds_load_2addr_b32 v[16:17], v24 offset1:16
	v_mov_b32_e32 v4, v19
	v_lshlrev_b64_e32 v[2:3], 2, v[2:3]
	s_wait_alu 0xfffe
	v_add_co_u32 v25, vcc_lo, s0, v0
	s_wait_alu 0xfffd
	v_add_co_ci_u32_e32 v26, vcc_lo, s1, v1, vcc_lo
	s_delay_alu instid0(VALU_DEP_2) | instskip(SKIP_1) | instid1(VALU_DEP_2)
	v_add_co_u32 v0, vcc_lo, v25, v2
	s_wait_alu 0xfffd
	v_add_co_ci_u32_e32 v1, vcc_lo, v26, v3, vcc_lo
	v_lshlrev_b64_e32 v[2:3], 2, v[5:6]
	v_mad_co_u64_u32 v[4:5], null, s5, v15, v[4:5]
	v_mad_co_u64_u32 v[6:7], null, s4, v13, 0
	v_mov_b32_e32 v5, v21
	s_delay_alu instid0(VALU_DEP_4)
	v_add_co_u32 v2, vcc_lo, v25, v2
	s_wait_alu 0xfffd
	v_add_co_ci_u32_e32 v3, vcc_lo, v26, v3, vcc_lo
	v_mov_b32_e32 v19, v4
	s_wait_dscnt 0x0
	global_store_b32 v[0:1], v16, off
	v_mov_b32_e32 v0, v7
	v_mad_co_u64_u32 v[4:5], null, s5, v14, v[5:6]
	global_store_b32 v[2:3], v17, off
	v_lshlrev_b64_e32 v[1:2], 2, v[18:19]
	ds_load_2addr_b32 v[15:16], v24 offset0:64 offset1:80
	v_mad_co_u64_u32 v[17:18], null, s4, v8, 0
	v_mov_b32_e32 v21, v4
	v_mad_co_u64_u32 v[13:14], null, s5, v13, v[0:1]
	v_mad_co_u64_u32 v[3:4], null, s4, v12, 0
	v_add_co_u32 v0, vcc_lo, v25, v1
	s_wait_alu 0xfffd
	v_add_co_ci_u32_e32 v1, vcc_lo, v26, v2, vcc_lo
	s_delay_alu instid0(VALU_DEP_4)
	v_mov_b32_e32 v7, v13
	v_lshlrev_b64_e32 v[13:14], 2, v[20:21]
	v_mov_b32_e32 v2, v4
	global_store_b32 v[0:1], v22, off
	v_lshlrev_b64_e32 v[0:1], 2, v[6:7]
	v_add_co_u32 v5, vcc_lo, v25, v13
	v_mad_co_u64_u32 v[12:13], null, s5, v12, v[2:3]
	s_wait_alu 0xfffd
	v_add_co_ci_u32_e32 v6, vcc_lo, v26, v14, vcc_lo
	s_delay_alu instid0(VALU_DEP_4) | instskip(SKIP_1) | instid1(VALU_DEP_4)
	v_add_co_u32 v0, vcc_lo, v25, v0
	v_mad_co_u64_u32 v[13:14], null, s4, v11, 0
	v_mov_b32_e32 v4, v12
	s_wait_alu 0xfffd
	v_add_co_ci_u32_e32 v1, vcc_lo, v26, v1, vcc_lo
	global_store_b32 v[5:6], v23, off
	s_wait_dscnt 0x0
	global_store_b32 v[0:1], v15, off
	v_mov_b32_e32 v2, v14
	v_lshlrev_b64_e32 v[0:1], 2, v[3:4]
	v_mad_co_u64_u32 v[3:4], null, s4, v9, 0
	v_mad_co_u64_u32 v[5:6], null, s4, v10, 0
	s_delay_alu instid0(VALU_DEP_3) | instskip(SKIP_1) | instid1(VALU_DEP_4)
	v_add_co_u32 v0, vcc_lo, v25, v0
	s_wait_alu 0xfffd
	v_add_co_ci_u32_e32 v1, vcc_lo, v26, v1, vcc_lo
	s_delay_alu instid0(VALU_DEP_4)
	v_mad_co_u64_u32 v[11:12], null, s5, v11, v[2:3]
	v_mov_b32_e32 v2, v4
	v_mov_b32_e32 v4, v6
	global_store_b32 v[0:1], v16, off
	ds_load_2addr_b32 v[0:1], v24 offset0:96 offset1:112
	v_mad_co_u64_u32 v[6:7], null, s5, v9, v[2:3]
	v_mov_b32_e32 v14, v11
	v_mov_b32_e32 v2, v18
	v_mad_co_u64_u32 v[9:10], null, s5, v10, v[4:5]
	s_delay_alu instid0(VALU_DEP_3) | instskip(NEXT) | instid1(VALU_DEP_3)
	v_lshlrev_b64_e32 v[10:11], 2, v[13:14]
	v_mad_co_u64_u32 v[7:8], null, s5, v8, v[2:3]
	v_mov_b32_e32 v4, v6
	s_delay_alu instid0(VALU_DEP_4) | instskip(NEXT) | instid1(VALU_DEP_4)
	v_mov_b32_e32 v6, v9
	v_add_co_u32 v8, vcc_lo, v25, v10
	s_wait_alu 0xfffd
	v_add_co_ci_u32_e32 v9, vcc_lo, v26, v11, vcc_lo
	ds_load_2addr_b32 v[10:11], v24 offset0:128 offset1:144
	v_lshlrev_b64_e32 v[2:3], 2, v[3:4]
	v_mov_b32_e32 v18, v7
	v_lshlrev_b64_e32 v[4:5], 2, v[5:6]
	s_delay_alu instid0(VALU_DEP_3) | instskip(NEXT) | instid1(VALU_DEP_3)
	v_add_co_u32 v2, vcc_lo, v25, v2
	v_lshlrev_b64_e32 v[6:7], 2, v[17:18]
	s_wait_alu 0xfffd
	v_add_co_ci_u32_e32 v3, vcc_lo, v26, v3, vcc_lo
	s_delay_alu instid0(VALU_DEP_4)
	v_add_co_u32 v4, vcc_lo, v25, v4
	s_wait_alu 0xfffd
	v_add_co_ci_u32_e32 v5, vcc_lo, v26, v5, vcc_lo
	v_add_co_u32 v6, vcc_lo, v25, v6
	s_wait_alu 0xfffd
	v_add_co_ci_u32_e32 v7, vcc_lo, v26, v7, vcc_lo
	s_wait_dscnt 0x1
	s_clause 0x1
	global_store_b32 v[8:9], v0, off
	global_store_b32 v[2:3], v1, off
	s_wait_dscnt 0x0
	s_clause 0x1
	global_store_b32 v[4:5], v10, off
	global_store_b32 v[6:7], v11, off
.LBB0_24:
	s_nop 0
	s_sendmsg sendmsg(MSG_DEALLOC_VGPRS)
	s_endpgm
	.section	.rodata,"a",@progbits
	.p2align	6, 0x0
	.amdhsa_kernel fft_rtc_fwd_len160_factors_4_10_4_wgs_192_tpt_16_half_ip_CI_sbcc_twdbase8_2step
		.amdhsa_group_segment_fixed_size 0
		.amdhsa_private_segment_fixed_size 0
		.amdhsa_kernarg_size 96
		.amdhsa_user_sgpr_count 2
		.amdhsa_user_sgpr_dispatch_ptr 0
		.amdhsa_user_sgpr_queue_ptr 0
		.amdhsa_user_sgpr_kernarg_segment_ptr 1
		.amdhsa_user_sgpr_dispatch_id 0
		.amdhsa_user_sgpr_private_segment_size 0
		.amdhsa_wavefront_size32 1
		.amdhsa_uses_dynamic_stack 0
		.amdhsa_enable_private_segment 0
		.amdhsa_system_sgpr_workgroup_id_x 1
		.amdhsa_system_sgpr_workgroup_id_y 0
		.amdhsa_system_sgpr_workgroup_id_z 0
		.amdhsa_system_sgpr_workgroup_info 0
		.amdhsa_system_vgpr_workitem_id 0
		.amdhsa_next_free_vgpr 86
		.amdhsa_next_free_sgpr 51
		.amdhsa_reserve_vcc 1
		.amdhsa_float_round_mode_32 0
		.amdhsa_float_round_mode_16_64 0
		.amdhsa_float_denorm_mode_32 3
		.amdhsa_float_denorm_mode_16_64 3
		.amdhsa_fp16_overflow 0
		.amdhsa_workgroup_processor_mode 1
		.amdhsa_memory_ordered 1
		.amdhsa_forward_progress 0
		.amdhsa_round_robin_scheduling 0
		.amdhsa_exception_fp_ieee_invalid_op 0
		.amdhsa_exception_fp_denorm_src 0
		.amdhsa_exception_fp_ieee_div_zero 0
		.amdhsa_exception_fp_ieee_overflow 0
		.amdhsa_exception_fp_ieee_underflow 0
		.amdhsa_exception_fp_ieee_inexact 0
		.amdhsa_exception_int_div_zero 0
	.end_amdhsa_kernel
	.text
.Lfunc_end0:
	.size	fft_rtc_fwd_len160_factors_4_10_4_wgs_192_tpt_16_half_ip_CI_sbcc_twdbase8_2step, .Lfunc_end0-fft_rtc_fwd_len160_factors_4_10_4_wgs_192_tpt_16_half_ip_CI_sbcc_twdbase8_2step
                                        ; -- End function
	.section	.AMDGPU.csdata,"",@progbits
; Kernel info:
; codeLenInByte = 8148
; NumSgprs: 53
; NumVgprs: 86
; ScratchSize: 0
; MemoryBound: 0
; FloatMode: 240
; IeeeMode: 1
; LDSByteSize: 0 bytes/workgroup (compile time only)
; SGPRBlocks: 6
; VGPRBlocks: 10
; NumSGPRsForWavesPerEU: 53
; NumVGPRsForWavesPerEU: 86
; Occupancy: 15
; WaveLimiterHint : 1
; COMPUTE_PGM_RSRC2:SCRATCH_EN: 0
; COMPUTE_PGM_RSRC2:USER_SGPR: 2
; COMPUTE_PGM_RSRC2:TRAP_HANDLER: 0
; COMPUTE_PGM_RSRC2:TGID_X_EN: 1
; COMPUTE_PGM_RSRC2:TGID_Y_EN: 0
; COMPUTE_PGM_RSRC2:TGID_Z_EN: 0
; COMPUTE_PGM_RSRC2:TIDIG_COMP_CNT: 0
	.text
	.p2alignl 7, 3214868480
	.fill 96, 4, 3214868480
	.type	__hip_cuid_a89c60c84bd09faa,@object ; @__hip_cuid_a89c60c84bd09faa
	.section	.bss,"aw",@nobits
	.globl	__hip_cuid_a89c60c84bd09faa
__hip_cuid_a89c60c84bd09faa:
	.byte	0                               ; 0x0
	.size	__hip_cuid_a89c60c84bd09faa, 1

	.ident	"AMD clang version 19.0.0git (https://github.com/RadeonOpenCompute/llvm-project roc-6.4.0 25133 c7fe45cf4b819c5991fe208aaa96edf142730f1d)"
	.section	".note.GNU-stack","",@progbits
	.addrsig
	.addrsig_sym __hip_cuid_a89c60c84bd09faa
	.amdgpu_metadata
---
amdhsa.kernels:
  - .args:
      - .actual_access:  read_only
        .address_space:  global
        .offset:         0
        .size:           8
        .value_kind:     global_buffer
      - .address_space:  global
        .offset:         8
        .size:           8
        .value_kind:     global_buffer
      - .offset:         16
        .size:           8
        .value_kind:     by_value
      - .actual_access:  read_only
        .address_space:  global
        .offset:         24
        .size:           8
        .value_kind:     global_buffer
      - .actual_access:  read_only
        .address_space:  global
        .offset:         32
        .size:           8
        .value_kind:     global_buffer
      - .offset:         40
        .size:           8
        .value_kind:     by_value
      - .actual_access:  read_only
        .address_space:  global
        .offset:         48
        .size:           8
        .value_kind:     global_buffer
      - .actual_access:  read_only
        .address_space:  global
        .offset:         56
        .size:           8
        .value_kind:     global_buffer
      - .offset:         64
        .size:           4
        .value_kind:     by_value
      - .actual_access:  read_only
        .address_space:  global
        .offset:         72
        .size:           8
        .value_kind:     global_buffer
      - .actual_access:  read_only
        .address_space:  global
        .offset:         80
        .size:           8
        .value_kind:     global_buffer
      - .address_space:  global
        .offset:         88
        .size:           8
        .value_kind:     global_buffer
    .group_segment_fixed_size: 0
    .kernarg_segment_align: 8
    .kernarg_segment_size: 96
    .language:       OpenCL C
    .language_version:
      - 2
      - 0
    .max_flat_workgroup_size: 192
    .name:           fft_rtc_fwd_len160_factors_4_10_4_wgs_192_tpt_16_half_ip_CI_sbcc_twdbase8_2step
    .private_segment_fixed_size: 0
    .sgpr_count:     53
    .sgpr_spill_count: 0
    .symbol:         fft_rtc_fwd_len160_factors_4_10_4_wgs_192_tpt_16_half_ip_CI_sbcc_twdbase8_2step.kd
    .uniform_work_group_size: 1
    .uses_dynamic_stack: false
    .vgpr_count:     86
    .vgpr_spill_count: 0
    .wavefront_size: 32
    .workgroup_processor_mode: 1
amdhsa.target:   amdgcn-amd-amdhsa--gfx1201
amdhsa.version:
  - 1
  - 2
...

	.end_amdgpu_metadata
